;; amdgpu-corpus repo=ROCm/rocFFT kind=compiled arch=gfx1030 opt=O3
	.text
	.amdgcn_target "amdgcn-amd-amdhsa--gfx1030"
	.amdhsa_code_object_version 6
	.protected	fft_rtc_back_len1456_factors_13_4_7_2_2_wgs_182_tpt_182_halfLds_dp_op_CI_CI_unitstride_sbrr_R2C_dirReg ; -- Begin function fft_rtc_back_len1456_factors_13_4_7_2_2_wgs_182_tpt_182_halfLds_dp_op_CI_CI_unitstride_sbrr_R2C_dirReg
	.globl	fft_rtc_back_len1456_factors_13_4_7_2_2_wgs_182_tpt_182_halfLds_dp_op_CI_CI_unitstride_sbrr_R2C_dirReg
	.p2align	8
	.type	fft_rtc_back_len1456_factors_13_4_7_2_2_wgs_182_tpt_182_halfLds_dp_op_CI_CI_unitstride_sbrr_R2C_dirReg,@function
fft_rtc_back_len1456_factors_13_4_7_2_2_wgs_182_tpt_182_halfLds_dp_op_CI_CI_unitstride_sbrr_R2C_dirReg: ; @fft_rtc_back_len1456_factors_13_4_7_2_2_wgs_182_tpt_182_halfLds_dp_op_CI_CI_unitstride_sbrr_R2C_dirReg
; %bb.0:
	s_clause 0x2
	s_load_dwordx4 s[12:15], s[4:5], 0x0
	s_load_dwordx4 s[8:11], s[4:5], 0x58
	;; [unrolled: 1-line block ×3, first 2 shown]
	v_mul_u32_u24_e32 v1, 0x169, v0
	v_mov_b32_e32 v3, 0
	s_mov_b64 s[50:51], s[2:3]
	s_mov_b64 s[48:49], s[0:1]
	v_add_nc_u32_sdwa v5, s6, v1 dst_sel:DWORD dst_unused:UNUSED_PAD src0_sel:DWORD src1_sel:WORD_1
	v_mov_b32_e32 v1, 0
	v_mov_b32_e32 v6, v3
	;; [unrolled: 1-line block ×3, first 2 shown]
	s_add_u32 s48, s48, s7
	s_addc_u32 s49, s49, 0
	s_waitcnt lgkmcnt(0)
	v_cmp_lt_u64_e64 s0, s[14:15], 2
	s_and_b32 vcc_lo, exec_lo, s0
	s_cbranch_vccnz .LBB0_8
; %bb.1:
	s_load_dwordx2 s[0:1], s[4:5], 0x10
	v_mov_b32_e32 v1, 0
	v_mov_b32_e32 v2, 0
	s_add_u32 s2, s18, 8
	s_addc_u32 s3, s19, 0
	s_add_u32 s6, s16, 8
	s_addc_u32 s7, s17, 0
	v_mov_b32_e32 v73, v2
	v_mov_b32_e32 v72, v1
	s_mov_b64 s[22:23], 1
	s_waitcnt lgkmcnt(0)
	s_add_u32 s20, s0, 8
	s_addc_u32 s21, s1, 0
.LBB0_2:                                ; =>This Inner Loop Header: Depth=1
	s_load_dwordx2 s[24:25], s[20:21], 0x0
                                        ; implicit-def: $vgpr74_vgpr75
	s_mov_b32 s0, exec_lo
	s_waitcnt lgkmcnt(0)
	v_or_b32_e32 v4, s25, v6
	v_cmpx_ne_u64_e32 0, v[3:4]
	s_xor_b32 s1, exec_lo, s0
	s_cbranch_execz .LBB0_4
; %bb.3:                                ;   in Loop: Header=BB0_2 Depth=1
	v_cvt_f32_u32_e32 v4, s24
	v_cvt_f32_u32_e32 v7, s25
	s_sub_u32 s0, 0, s24
	s_subb_u32 s26, 0, s25
	v_fmac_f32_e32 v4, 0x4f800000, v7
	v_rcp_f32_e32 v4, v4
	v_mul_f32_e32 v4, 0x5f7ffffc, v4
	v_mul_f32_e32 v7, 0x2f800000, v4
	v_trunc_f32_e32 v7, v7
	v_fmac_f32_e32 v4, 0xcf800000, v7
	v_cvt_u32_f32_e32 v7, v7
	v_cvt_u32_f32_e32 v4, v4
	v_mul_lo_u32 v8, s0, v7
	v_mul_hi_u32 v9, s0, v4
	v_mul_lo_u32 v10, s26, v4
	v_add_nc_u32_e32 v8, v9, v8
	v_mul_lo_u32 v9, s0, v4
	v_add_nc_u32_e32 v8, v8, v10
	v_mul_hi_u32 v10, v4, v9
	v_mul_lo_u32 v11, v4, v8
	v_mul_hi_u32 v12, v4, v8
	v_mul_hi_u32 v13, v7, v9
	v_mul_lo_u32 v9, v7, v9
	v_mul_hi_u32 v14, v7, v8
	v_mul_lo_u32 v8, v7, v8
	v_add_co_u32 v10, vcc_lo, v10, v11
	v_add_co_ci_u32_e32 v11, vcc_lo, 0, v12, vcc_lo
	v_add_co_u32 v9, vcc_lo, v10, v9
	v_add_co_ci_u32_e32 v9, vcc_lo, v11, v13, vcc_lo
	v_add_co_ci_u32_e32 v10, vcc_lo, 0, v14, vcc_lo
	v_add_co_u32 v8, vcc_lo, v9, v8
	v_add_co_ci_u32_e32 v9, vcc_lo, 0, v10, vcc_lo
	v_add_co_u32 v4, vcc_lo, v4, v8
	v_add_co_ci_u32_e32 v7, vcc_lo, v7, v9, vcc_lo
	v_mul_hi_u32 v8, s0, v4
	v_mul_lo_u32 v10, s26, v4
	v_mul_lo_u32 v9, s0, v7
	v_add_nc_u32_e32 v8, v8, v9
	v_mul_lo_u32 v9, s0, v4
	v_add_nc_u32_e32 v8, v8, v10
	v_mul_hi_u32 v10, v4, v9
	v_mul_lo_u32 v11, v4, v8
	v_mul_hi_u32 v12, v4, v8
	v_mul_hi_u32 v13, v7, v9
	v_mul_lo_u32 v9, v7, v9
	v_mul_hi_u32 v14, v7, v8
	v_mul_lo_u32 v8, v7, v8
	v_add_co_u32 v10, vcc_lo, v10, v11
	v_add_co_ci_u32_e32 v11, vcc_lo, 0, v12, vcc_lo
	v_add_co_u32 v9, vcc_lo, v10, v9
	v_add_co_ci_u32_e32 v9, vcc_lo, v11, v13, vcc_lo
	v_add_co_ci_u32_e32 v10, vcc_lo, 0, v14, vcc_lo
	v_add_co_u32 v8, vcc_lo, v9, v8
	v_add_co_ci_u32_e32 v9, vcc_lo, 0, v10, vcc_lo
	v_add_co_u32 v4, vcc_lo, v4, v8
	v_add_co_ci_u32_e32 v11, vcc_lo, v7, v9, vcc_lo
	v_mul_hi_u32 v13, v5, v4
	v_mad_u64_u32 v[9:10], null, v6, v4, 0
	v_mad_u64_u32 v[7:8], null, v5, v11, 0
	;; [unrolled: 1-line block ×3, first 2 shown]
	v_add_co_u32 v4, vcc_lo, v13, v7
	v_add_co_ci_u32_e32 v7, vcc_lo, 0, v8, vcc_lo
	v_add_co_u32 v4, vcc_lo, v4, v9
	v_add_co_ci_u32_e32 v4, vcc_lo, v7, v10, vcc_lo
	v_add_co_ci_u32_e32 v7, vcc_lo, 0, v12, vcc_lo
	v_add_co_u32 v4, vcc_lo, v4, v11
	v_add_co_ci_u32_e32 v9, vcc_lo, 0, v7, vcc_lo
	v_mul_lo_u32 v10, s25, v4
	v_mad_u64_u32 v[7:8], null, s24, v4, 0
	v_mul_lo_u32 v11, s24, v9
	v_sub_co_u32 v7, vcc_lo, v5, v7
	v_add3_u32 v8, v8, v11, v10
	v_sub_nc_u32_e32 v10, v6, v8
	v_subrev_co_ci_u32_e64 v10, s0, s25, v10, vcc_lo
	v_add_co_u32 v11, s0, v4, 2
	v_add_co_ci_u32_e64 v12, s0, 0, v9, s0
	v_sub_co_u32 v13, s0, v7, s24
	v_sub_co_ci_u32_e32 v8, vcc_lo, v6, v8, vcc_lo
	v_subrev_co_ci_u32_e64 v10, s0, 0, v10, s0
	v_cmp_le_u32_e32 vcc_lo, s24, v13
	v_cmp_eq_u32_e64 s0, s25, v8
	v_cndmask_b32_e64 v13, 0, -1, vcc_lo
	v_cmp_le_u32_e32 vcc_lo, s25, v10
	v_cndmask_b32_e64 v14, 0, -1, vcc_lo
	v_cmp_le_u32_e32 vcc_lo, s24, v7
	;; [unrolled: 2-line block ×3, first 2 shown]
	v_cndmask_b32_e64 v15, 0, -1, vcc_lo
	v_cmp_eq_u32_e32 vcc_lo, s25, v10
	v_cndmask_b32_e64 v7, v15, v7, s0
	v_cndmask_b32_e32 v10, v14, v13, vcc_lo
	v_add_co_u32 v13, vcc_lo, v4, 1
	v_add_co_ci_u32_e32 v14, vcc_lo, 0, v9, vcc_lo
	v_cmp_ne_u32_e32 vcc_lo, 0, v10
	v_cndmask_b32_e32 v8, v14, v12, vcc_lo
	v_cndmask_b32_e32 v10, v13, v11, vcc_lo
	v_cmp_ne_u32_e32 vcc_lo, 0, v7
	v_cndmask_b32_e32 v75, v9, v8, vcc_lo
	v_cndmask_b32_e32 v74, v4, v10, vcc_lo
.LBB0_4:                                ;   in Loop: Header=BB0_2 Depth=1
	s_andn2_saveexec_b32 s0, s1
	s_cbranch_execz .LBB0_6
; %bb.5:                                ;   in Loop: Header=BB0_2 Depth=1
	v_cvt_f32_u32_e32 v4, s24
	s_sub_i32 s1, 0, s24
	v_mov_b32_e32 v75, v3
	v_rcp_iflag_f32_e32 v4, v4
	v_mul_f32_e32 v4, 0x4f7ffffe, v4
	v_cvt_u32_f32_e32 v4, v4
	v_mul_lo_u32 v7, s1, v4
	v_mul_hi_u32 v7, v4, v7
	v_add_nc_u32_e32 v4, v4, v7
	v_mul_hi_u32 v4, v5, v4
	v_mul_lo_u32 v7, v4, s24
	v_add_nc_u32_e32 v8, 1, v4
	v_sub_nc_u32_e32 v7, v5, v7
	v_subrev_nc_u32_e32 v9, s24, v7
	v_cmp_le_u32_e32 vcc_lo, s24, v7
	v_cndmask_b32_e32 v7, v7, v9, vcc_lo
	v_cndmask_b32_e32 v4, v4, v8, vcc_lo
	v_cmp_le_u32_e32 vcc_lo, s24, v7
	v_add_nc_u32_e32 v8, 1, v4
	v_cndmask_b32_e32 v74, v4, v8, vcc_lo
.LBB0_6:                                ;   in Loop: Header=BB0_2 Depth=1
	s_or_b32 exec_lo, exec_lo, s0
	v_mul_lo_u32 v4, v75, s24
	v_mul_lo_u32 v9, v74, s25
	s_load_dwordx2 s[0:1], s[6:7], 0x0
	v_mad_u64_u32 v[7:8], null, v74, s24, 0
	s_load_dwordx2 s[24:25], s[2:3], 0x0
	s_add_u32 s22, s22, 1
	s_addc_u32 s23, s23, 0
	s_add_u32 s2, s2, 8
	s_addc_u32 s3, s3, 0
	s_add_u32 s6, s6, 8
	v_add3_u32 v4, v8, v9, v4
	v_sub_co_u32 v5, vcc_lo, v5, v7
	s_addc_u32 s7, s7, 0
	s_add_u32 s20, s20, 8
	v_sub_co_ci_u32_e32 v4, vcc_lo, v6, v4, vcc_lo
	s_addc_u32 s21, s21, 0
	s_waitcnt lgkmcnt(0)
	v_mul_lo_u32 v6, s0, v4
	v_mul_lo_u32 v7, s1, v5
	v_mad_u64_u32 v[1:2], null, s0, v5, v[1:2]
	v_mul_lo_u32 v4, s24, v4
	v_mul_lo_u32 v8, s25, v5
	v_mad_u64_u32 v[72:73], null, s24, v5, v[72:73]
	v_cmp_ge_u64_e64 s0, s[22:23], s[14:15]
	v_add3_u32 v2, v7, v2, v6
	v_add3_u32 v73, v8, v73, v4
	s_and_b32 vcc_lo, exec_lo, s0
	s_cbranch_vccnz .LBB0_9
; %bb.7:                                ;   in Loop: Header=BB0_2 Depth=1
	v_mov_b32_e32 v5, v74
	v_mov_b32_e32 v6, v75
	s_branch .LBB0_2
.LBB0_8:
	v_mov_b32_e32 v73, v2
	v_mov_b32_e32 v75, v6
	;; [unrolled: 1-line block ×4, first 2 shown]
.LBB0_9:
	s_load_dwordx2 s[0:1], s[4:5], 0x28
	v_mul_hi_u32 v3, 0x1681682, v0
	s_lshl_b64 s[4:5], s[14:15], 3
                                        ; implicit-def: $vgpr76
	s_add_u32 s2, s18, s4
	s_addc_u32 s3, s19, s5
	s_waitcnt lgkmcnt(0)
	v_cmp_gt_u64_e32 vcc_lo, s[0:1], v[74:75]
	v_cmp_le_u64_e64 s0, s[0:1], v[74:75]
	s_and_saveexec_b32 s1, s0
	s_xor_b32 s0, exec_lo, s1
; %bb.10:
	v_mul_u32_u24_e32 v1, 0xb6, v3
                                        ; implicit-def: $vgpr3
	v_sub_nc_u32_e32 v76, v0, v1
                                        ; implicit-def: $vgpr0
                                        ; implicit-def: $vgpr1_vgpr2
; %bb.11:
	s_andn2_saveexec_b32 s1, s0
	s_cbranch_execz .LBB0_13
; %bb.12:
	s_add_u32 s4, s16, s4
	s_addc_u32 s5, s17, s5
	v_lshlrev_b64 v[1:2], 4, v[1:2]
	s_load_dwordx2 s[4:5], s[4:5], 0x0
	s_waitcnt lgkmcnt(0)
	v_mul_lo_u32 v6, s5, v74
	v_mul_lo_u32 v7, s4, v75
	v_mad_u64_u32 v[4:5], null, s4, v74, 0
	v_add3_u32 v5, v5, v7, v6
	v_mul_u32_u24_e32 v6, 0xb6, v3
	v_lshlrev_b64 v[3:4], 4, v[4:5]
	v_sub_nc_u32_e32 v76, v0, v6
	v_lshlrev_b32_e32 v32, 4, v76
	v_add_co_u32 v0, s0, s8, v3
	v_add_co_ci_u32_e64 v3, s0, s9, v4, s0
	v_add_co_u32 v0, s0, v0, v1
	v_add_co_ci_u32_e64 v1, s0, v3, v2, s0
	v_add_co_u32 v0, s0, v0, v32
	v_add_co_ci_u32_e64 v1, s0, 0, v1, s0
	v_add_nc_u32_e32 v32, 0, v32
	v_add_co_u32 v4, s0, 0x800, v0
	v_add_co_ci_u32_e64 v5, s0, 0, v1, s0
	v_add_co_u32 v8, s0, 0x1000, v0
	v_add_co_ci_u32_e64 v9, s0, 0, v1, s0
	;; [unrolled: 2-line block ×7, first 2 shown]
	s_clause 0x7
	global_load_dwordx4 v[0:3], v[0:1], off
	global_load_dwordx4 v[4:7], v[4:5], off offset:864
	global_load_dwordx4 v[8:11], v[8:9], off offset:1728
	;; [unrolled: 1-line block ×7, first 2 shown]
	s_waitcnt vmcnt(7)
	ds_write_b128 v32, v[0:3]
	s_waitcnt vmcnt(6)
	ds_write_b128 v32, v[4:7] offset:2912
	s_waitcnt vmcnt(5)
	ds_write_b128 v32, v[8:11] offset:5824
	;; [unrolled: 2-line block ×7, first 2 shown]
.LBB0_13:
	s_or_b32 exec_lo, exec_lo, s1
	v_lshl_add_u32 v245, v76, 4, 0
	s_waitcnt lgkmcnt(0)
	s_barrier
	buffer_gl0_inv
	s_mov_b32 s30, 0x24c2f84
	ds_read_b128 v[20:23], v245 offset:21504
	ds_read_b128 v[24:27], v245 offset:1792
	;; [unrolled: 1-line block ×3, first 2 shown]
	ds_read_b128 v[32:35], v245
	ds_read_b128 v[48:51], v245 offset:3584
	ds_read_b128 v[60:63], v245 offset:5376
	;; [unrolled: 1-line block ×9, first 2 shown]
	s_mov_b32 s31, 0xbfe5384d
	s_mov_b32 s4, 0xe00740e9
	;; [unrolled: 1-line block ×15, first 2 shown]
	s_waitcnt lgkmcnt(11)
	v_add_f64 v[81:82], v[26:27], -v[22:23]
	v_add_f64 v[79:80], v[26:27], v[22:23]
	s_waitcnt lgkmcnt(2)
	v_add_f64 v[137:138], v[70:71], -v[46:47]
	v_add_f64 v[173:174], v[24:25], v[20:21]
	v_add_f64 v[175:176], v[24:25], -v[20:21]
	v_add_f64 v[181:182], v[50:51], -v[30:31]
	v_add_f64 v[179:180], v[50:51], v[30:31]
	s_mov_b32 s19, 0xbfd6b1d8
	s_mov_b32 s21, 0xbfedeba7
	v_add_f64 v[165:166], v[48:49], v[28:29]
	v_add_f64 v[167:168], v[48:49], -v[28:29]
	v_add_f64 v[171:172], v[62:63], -v[38:39]
	v_add_f64 v[183:184], v[62:63], v[38:39]
	s_mov_b32 s26, 0x93053d00
	s_mov_b32 s24, 0x4bc48dbf
	;; [unrolled: 1-line block ×4, first 2 shown]
	v_add_f64 v[141:142], v[60:61], v[36:37]
	v_add_f64 v[143:144], v[60:61], -v[36:37]
	v_add_f64 v[153:154], v[66:67], -v[42:43]
	v_add_f64 v[163:164], v[66:67], v[42:43]
	s_mov_b32 s22, 0xd0032e0c
	v_mul_f64 v[147:148], v[81:82], s[16:17]
	v_mul_f64 v[151:152], v[79:80], s[4:5]
	;; [unrolled: 1-line block ×17, first 2 shown]
	s_mov_b32 s23, 0xbfe7f3cc
	s_mov_b32 s37, 0x3fe5384d
	;; [unrolled: 1-line block ×3, first 2 shown]
	buffer_store_dword v77, off, s[48:51], 0 ; 4-byte Folded Spill
	buffer_store_dword v78, off, s[48:51], 0 offset:4 ; 4-byte Folded Spill
	v_fma_f64 v[0:1], v[173:174], s[4:5], -v[147:148]
	v_fma_f64 v[2:3], v[175:176], s[16:17], v[151:152]
	v_fma_f64 v[4:5], v[173:174], s[6:7], -v[157:158]
	v_fma_f64 v[6:7], v[175:176], s[14:15], v[169:170]
	;; [unrolled: 2-line block ×3, first 2 shown]
	v_fma_f64 v[12:13], v[165:166], s[18:19], -v[105:106]
	v_fma_f64 v[14:15], v[173:174], s[8:9], -v[177:178]
	v_fma_f64 v[16:17], v[175:176], s[28:29], v[185:186]
	v_fma_f64 v[18:19], v[167:168], s[20:21], v[125:126]
	s_mov_b32 s36, s30
	s_mov_b32 s40, s20
	v_add_f64 v[131:132], v[64:65], v[40:41]
	v_add_f64 v[133:134], v[64:65], -v[40:41]
	v_add_f64 v[155:156], v[70:71], v[46:47]
	v_mul_f64 v[83:84], v[153:154], s[20:21]
	v_mul_f64 v[85:86], v[163:164], s[18:19]
	;; [unrolled: 1-line block ×5, first 2 shown]
	v_fma_f64 v[159:160], v[141:142], s[8:9], -v[87:88]
	v_fma_f64 v[161:162], v[143:144], s[28:29], v[93:94]
	v_add_f64 v[0:1], v[32:33], v[0:1]
	v_add_f64 v[2:3], v[34:35], v[2:3]
	;; [unrolled: 1-line block ×4, first 2 shown]
	v_fma_f64 v[187:188], v[141:142], s[26:27], -v[99:100]
	v_mul_f64 v[225:226], v[81:82], s[20:21]
	v_mul_f64 v[233:234], v[79:80], s[18:19]
	;; [unrolled: 1-line block ×4, first 2 shown]
	s_mov_b32 s35, 0x3fefc445
	s_mov_b32 s39, 0x3fddbe06
	;; [unrolled: 1-line block ×4, first 2 shown]
	v_add_f64 v[121:122], v[68:69], v[44:45]
	v_add_f64 v[123:124], v[68:69], -v[44:45]
	s_waitcnt lgkmcnt(0)
	v_add_f64 v[129:130], v[58:59], -v[54:55]
	v_add_f64 v[145:146], v[58:59], v[54:55]
	v_mul_f64 v[95:96], v[163:164], s[22:23]
	v_mul_f64 v[97:98], v[155:156], s[22:23]
	;; [unrolled: 1-line block ×3, first 2 shown]
	v_fma_f64 v[189:190], v[133:134], s[20:21], v[85:86]
	v_fma_f64 v[191:192], v[131:132], s[22:23], -v[89:90]
	v_add_f64 v[0:1], v[8:9], v[0:1]
	v_add_f64 v[2:3], v[10:11], v[2:3]
	v_fma_f64 v[8:9], v[165:166], s[26:27], -v[111:112]
	v_add_f64 v[4:5], v[12:13], v[4:5]
	v_add_f64 v[10:11], v[32:33], v[14:15]
	v_fma_f64 v[12:13], v[167:168], s[24:25], v[135:136]
	v_add_f64 v[14:15], v[34:35], v[16:17]
	v_fma_f64 v[16:17], v[143:144], s[24:25], v[113:114]
	v_add_f64 v[6:7], v[18:19], v[6:7]
	v_fma_f64 v[18:19], v[131:132], s[18:19], -v[83:84]
	v_fma_f64 v[193:194], v[141:142], s[18:19], -v[127:128]
	v_mul_f64 v[197:198], v[181:182], s[36:37]
	v_fma_f64 v[195:196], v[175:176], s[20:21], v[233:234]
	v_mul_f64 v[221:222], v[179:180], s[22:23]
	v_mul_f64 v[201:202], v[181:182], s[34:35]
	;; [unrolled: 1-line block ×3, first 2 shown]
	v_fma_f64 v[207:208], v[175:176], s[30:31], v[243:244]
	v_add_f64 v[117:118], v[56:57], v[52:53]
	v_add_f64 v[119:120], v[56:57], -v[52:53]
	v_mul_f64 v[101:102], v[137:138], s[34:35]
	v_mul_f64 v[107:108], v[155:156], s[8:9]
	;; [unrolled: 1-line block ×3, first 2 shown]
	v_add_f64 v[0:1], v[159:160], v[0:1]
	v_add_f64 v[2:3], v[161:162], v[2:3]
	v_mul_f64 v[115:116], v[145:146], s[26:27]
	v_add_f64 v[4:5], v[187:188], v[4:5]
	v_add_f64 v[8:9], v[8:9], v[10:11]
	v_fma_f64 v[10:11], v[143:144], s[40:41], v[139:140]
	v_add_f64 v[12:13], v[12:13], v[14:15]
	v_mul_f64 v[187:188], v[163:164], s[4:5]
	v_fma_f64 v[14:15], v[173:174], s[18:19], -v[225:226]
	v_add_f64 v[6:7], v[16:17], v[6:7]
	v_fma_f64 v[16:17], v[173:174], s[22:23], -v[241:242]
	v_fma_f64 v[199:200], v[133:134], s[36:37], v[95:96]
	v_fma_f64 v[209:210], v[123:124], s[30:31], v[97:98]
	v_fma_f64 v[211:212], v[165:166], s[22:23], -v[197:198]
	v_add_f64 v[213:214], v[34:35], v[195:196]
	v_fma_f64 v[215:216], v[167:168], s[36:37], v[221:222]
	v_mul_f64 v[203:204], v[171:172], s[38:39]
	v_mul_f64 v[231:232], v[183:184], s[4:5]
	v_fma_f64 v[219:220], v[165:166], s[8:9], -v[201:202]
	v_add_f64 v[207:208], v[34:35], v[207:208]
	v_fma_f64 v[223:224], v[167:168], s[34:35], v[235:236]
	v_mul_f64 v[237:238], v[171:172], s[14:15]
	v_add_f64 v[0:1], v[18:19], v[0:1]
	v_add_f64 v[2:3], v[189:190], v[2:3]
	v_mul_f64 v[189:190], v[137:138], s[14:15]
	v_add_f64 v[4:5], v[191:192], v[4:5]
	v_add_f64 v[8:9], v[193:194], v[8:9]
	v_fma_f64 v[193:194], v[131:132], s[4:5], -v[149:150]
	v_add_f64 v[10:11], v[10:11], v[12:13]
	v_fma_f64 v[12:13], v[133:134], s[38:39], v[187:188]
	v_mul_f64 v[191:192], v[155:156], s[6:7]
	v_add_f64 v[14:15], v[32:33], v[14:15]
	v_add_f64 v[16:17], v[32:33], v[16:17]
	v_mul_f64 v[239:240], v[183:184], s[6:7]
	s_mov_b32 s43, 0x3fcea1e5
	s_mov_b32 s42, s24
	v_mul_f64 v[161:162], v[145:146], s[4:5]
	v_fma_f64 v[18:19], v[121:122], s[8:9], -v[101:102]
	v_fma_f64 v[217:218], v[123:124], s[34:35], v[107:108]
	v_add_f64 v[6:7], v[199:200], v[6:7]
	v_fma_f64 v[227:228], v[117:118], s[26:27], -v[109:110]
	v_fma_f64 v[229:230], v[119:120], s[24:25], v[115:116]
	v_mul_f64 v[195:196], v[145:146], s[22:23]
	v_fma_f64 v[246:247], v[143:144], s[38:39], v[231:232]
	v_mul_f64 v[199:200], v[153:154], s[28:29]
	v_add_f64 v[2:3], v[209:210], v[2:3]
	v_fma_f64 v[248:249], v[141:142], s[6:7], -v[237:238]
	v_mul_f64 v[159:160], v[129:130], s[38:39]
	s_mov_b32 s45, 0x3fea55e2
	v_add_f64 v[8:9], v[193:194], v[8:9]
	v_mul_f64 v[193:194], v[129:130], s[30:31]
	v_add_f64 v[10:11], v[12:13], v[10:11]
	v_fma_f64 v[12:13], v[121:122], s[6:7], -v[189:190]
	v_fma_f64 v[209:210], v[123:124], s[14:15], v[191:192]
	v_add_f64 v[14:15], v[211:212], v[14:15]
	v_add_f64 v[211:212], v[215:216], v[213:214]
	v_fma_f64 v[213:214], v[141:142], s[4:5], -v[203:204]
	v_add_f64 v[16:17], v[219:220], v[16:17]
	v_add_f64 v[219:220], v[223:224], v[207:208]
	v_fma_f64 v[250:251], v[143:144], s[14:15], v[239:240]
	v_mul_f64 v[215:216], v[153:154], s[42:43]
	v_mul_f64 v[223:224], v[163:164], s[26:27]
	v_add_f64 v[4:5], v[18:19], v[4:5]
	v_fma_f64 v[18:19], v[119:120], s[38:39], v[161:162]
	v_add_f64 v[6:7], v[217:218], v[6:7]
	v_fma_f64 v[217:218], v[119:120], s[30:31], v[195:196]
	v_mul_f64 v[207:208], v[137:138], s[42:43]
	s_mov_b32 s44, s14
	s_mov_b32 s1, exec_lo
	v_fma_f64 v[252:253], v[117:118], s[4:5], -v[159:160]
	s_waitcnt_vscnt null, 0x0
	s_barrier
	buffer_gl0_inv
	v_add_f64 v[8:9], v[12:13], v[8:9]
	v_add_f64 v[10:11], v[209:210], v[10:11]
	v_fma_f64 v[209:210], v[117:118], s[22:23], -v[193:194]
	v_add_f64 v[211:212], v[246:247], v[211:212]
	v_add_f64 v[254:255], v[213:214], v[14:15]
	v_fma_f64 v[246:247], v[131:132], s[8:9], -v[199:200]
	v_add_f64 v[14:15], v[229:230], v[2:3]
	v_mul_f64 v[213:214], v[155:156], s[26:27]
	v_add_f64 v[16:17], v[248:249], v[16:17]
	v_add_f64 v[229:230], v[250:251], v[219:220]
	v_fma_f64 v[248:249], v[131:132], s[26:27], -v[215:216]
	v_fma_f64 v[250:251], v[133:134], s[42:43], v[223:224]
	v_mul_f64 v[219:220], v[137:138], s[38:39]
	v_add_f64 v[6:7], v[18:19], v[6:7]
	v_fma_f64 v[18:19], v[121:122], s[26:27], -v[207:208]
	v_add_f64 v[4:5], v[252:253], v[4:5]
	v_add_f64 v[2:3], v[217:218], v[10:11]
	v_mul_f64 v[217:218], v[129:130], s[20:21]
	v_add_f64 v[16:17], v[248:249], v[16:17]
	v_fma_f64 v[248:249], v[121:122], s[4:5], -v[219:220]
	v_add_f64 v[248:249], v[248:249], v[16:17]
	v_fma_f64 v[205:206], v[121:122], s[22:23], -v[77:78]
	v_add_f64 v[0:1], v[205:206], v[0:1]
	v_mul_f64 v[205:206], v[163:164], s[8:9]
	v_add_f64 v[12:13], v[227:228], v[0:1]
	v_fma_f64 v[77:78], v[133:134], s[28:29], v[205:206]
	v_mul_f64 v[227:228], v[155:156], s[4:5]
	v_add_f64 v[0:1], v[209:210], v[8:9]
	v_add_f64 v[8:9], v[246:247], v[254:255]
	v_mul_f64 v[209:210], v[129:130], s[44:45]
	v_add_f64 v[246:247], v[250:251], v[229:230]
	v_mul_f64 v[229:230], v[145:146], s[18:19]
	v_add_f64 v[10:11], v[77:78], v[211:212]
	v_fma_f64 v[77:78], v[123:124], s[42:43], v[213:214]
	v_mul_f64 v[211:212], v[145:146], s[6:7]
	v_fma_f64 v[250:251], v[123:124], s[38:39], v[227:228]
	v_add_f64 v[8:9], v[18:19], v[8:9]
	v_fma_f64 v[18:19], v[117:118], s[6:7], -v[209:210]
	v_fma_f64 v[252:253], v[119:120], s[20:21], v[229:230]
	v_add_f64 v[10:11], v[77:78], v[10:11]
	v_fma_f64 v[77:78], v[119:120], s[44:45], v[211:212]
	v_add_f64 v[246:247], v[250:251], v[246:247]
	v_fma_f64 v[250:251], v[117:118], s[18:19], -v[217:218]
	v_add_f64 v[16:17], v[18:19], v[8:9]
	v_add_f64 v[18:19], v[77:78], v[10:11]
	;; [unrolled: 1-line block ×4, first 2 shown]
	v_cmpx_gt_u32_e32 0x70, v76
	s_cbranch_execz .LBB0_15
; %bb.14:
	v_add_f64 v[26:27], v[34:35], v[26:27]
	v_add_f64 v[24:25], v[32:33], v[24:25]
	v_mul_f64 v[246:247], v[175:176], s[28:29]
	v_mul_f64 v[248:249], v[173:174], s[18:19]
	;; [unrolled: 1-line block ×8, first 2 shown]
	v_add_f64 v[26:27], v[26:27], v[50:51]
	v_add_f64 v[24:25], v[24:25], v[48:49]
	v_mul_f64 v[48:49], v[175:176], s[24:25]
	v_mul_f64 v[50:51], v[167:168], s[38:39]
	v_add_f64 v[225:226], v[248:249], v[225:226]
	v_mul_f64 v[248:249], v[133:134], s[44:45]
	v_add_f64 v[185:186], v[185:186], -v[246:247]
	v_add_f64 v[77:78], v[77:78], v[241:242]
	v_mul_f64 v[241:242], v[167:168], s[20:21]
	v_fma_f64 v[246:247], v[165:166], s[4:5], -v[181:182]
	v_fma_f64 v[181:182], v[165:166], s[4:5], v[181:182]
	v_add_f64 v[26:27], v[26:27], v[62:63]
	v_add_f64 v[24:25], v[24:25], v[60:61]
	v_fma_f64 v[62:63], v[79:80], s[26:27], v[48:49]
	v_mul_f64 v[60:61], v[81:82], s[24:25]
	v_mul_f64 v[81:82], v[175:176], s[20:21]
	v_fma_f64 v[250:251], v[179:180], s[4:5], v[50:51]
	v_fma_f64 v[48:49], v[79:80], s[26:27], -v[48:49]
	v_mul_f64 v[79:80], v[173:174], s[6:7]
	v_add_f64 v[185:186], v[34:35], v[185:186]
	v_fma_f64 v[50:51], v[179:180], s[4:5], -v[50:51]
	v_add_f64 v[77:78], v[32:33], v[77:78]
	v_add_f64 v[225:226], v[32:33], v[225:226]
	v_add_f64 v[125:126], v[125:126], -v[241:242]
	v_mul_f64 v[241:242], v[117:118], s[26:27]
	v_add_f64 v[26:27], v[26:27], v[66:67]
	v_add_f64 v[24:25], v[24:25], v[64:65]
	v_mul_f64 v[64:65], v[143:144], s[30:31]
	v_add_f64 v[62:63], v[34:35], v[62:63]
	v_mul_f64 v[66:67], v[173:174], s[4:5]
	v_add_f64 v[81:82], v[233:234], -v[81:82]
	v_add_f64 v[48:49], v[34:35], v[48:49]
	v_add_f64 v[79:80], v[79:80], v[157:158]
	v_mul_f64 v[157:158], v[143:144], s[28:29]
	v_fma_f64 v[179:180], v[173:174], s[26:27], -v[60:61]
	v_fma_f64 v[60:61], v[173:174], s[26:27], v[60:61]
	v_mul_f64 v[173:174], v[173:174], s[8:9]
	v_mul_f64 v[233:234], v[165:166], s[26:27]
	v_add_f64 v[26:27], v[26:27], v[70:71]
	v_add_f64 v[24:25], v[24:25], v[68:69]
	v_mul_f64 v[68:69], v[175:176], s[30:31]
	v_mul_f64 v[70:71], v[175:176], s[16:17]
	;; [unrolled: 1-line block ×3, first 2 shown]
	v_add_f64 v[62:63], v[250:251], v[62:63]
	v_add_f64 v[66:67], v[66:67], v[147:148]
	v_fma_f64 v[147:148], v[163:164], s[6:7], v[248:249]
	v_add_f64 v[81:82], v[34:35], v[81:82]
	v_add_f64 v[93:94], v[93:94], -v[157:158]
	v_add_f64 v[179:180], v[32:33], v[179:180]
	v_add_f64 v[60:61], v[32:33], v[60:61]
	v_mul_f64 v[250:251], v[167:168], s[24:25]
	v_add_f64 v[173:174], v[173:174], v[177:178]
	v_mul_f64 v[177:178], v[167:168], s[36:37]
	v_fma_f64 v[163:164], v[163:164], s[6:7], -v[248:249]
	v_mul_f64 v[248:249], v[123:124], s[20:21]
	v_add_f64 v[48:49], v[50:51], v[48:49]
	v_mul_f64 v[50:51], v[165:166], s[22:23]
	v_add_f64 v[79:80], v[32:33], v[79:80]
	v_add_f64 v[111:112], v[233:234], v[111:112]
	v_mul_f64 v[233:234], v[119:120], s[30:31]
	v_add_f64 v[26:27], v[26:27], v[58:59]
	v_fma_f64 v[58:59], v[183:184], s[22:23], v[64:65]
	v_fma_f64 v[64:65], v[183:184], s[22:23], -v[64:65]
	v_mul_f64 v[183:184], v[167:168], s[14:15]
	v_add_f64 v[68:69], v[243:244], -v[68:69]
	v_add_f64 v[169:170], v[169:170], -v[175:176]
	;; [unrolled: 1-line block ×3, first 2 shown]
	v_add_f64 v[24:25], v[24:25], v[56:57]
	v_mul_f64 v[167:168], v[167:168], s[34:35]
	v_mul_f64 v[56:57], v[165:166], s[6:7]
	;; [unrolled: 1-line block ×6, first 2 shown]
	v_add_f64 v[179:180], v[246:247], v[179:180]
	v_mul_f64 v[246:247], v[143:144], s[24:25]
	v_add_f64 v[60:61], v[181:182], v[60:61]
	v_mul_f64 v[181:182], v[141:142], s[18:19]
	v_add_f64 v[173:174], v[32:33], v[173:174]
	v_add_f64 v[32:33], v[32:33], v[66:67]
	v_mul_f64 v[66:67], v[143:144], s[14:15]
	v_add_f64 v[177:178], v[221:222], -v[177:178]
	v_add_f64 v[26:27], v[26:27], v[54:55]
	v_add_f64 v[58:59], v[58:59], v[62:63]
	v_fma_f64 v[62:63], v[141:142], s[22:23], -v[171:172]
	v_add_f64 v[103:104], v[103:104], -v[183:184]
	v_add_f64 v[68:69], v[34:35], v[68:69]
	v_add_f64 v[169:170], v[34:35], v[169:170]
	;; [unrolled: 1-line block ×3, first 2 shown]
	v_fma_f64 v[171:172], v[141:142], s[22:23], v[171:172]
	v_fma_f64 v[70:71], v[155:156], s[18:19], v[248:249]
	v_fma_f64 v[155:156], v[155:156], s[18:19], -v[248:249]
	v_mul_f64 v[248:249], v[143:144], s[40:41]
	v_add_f64 v[167:168], v[235:236], -v[167:168]
	v_mul_f64 v[235:236], v[141:142], s[4:5]
	v_mul_f64 v[141:142], v[141:142], s[6:7]
	;; [unrolled: 1-line block ×3, first 2 shown]
	v_add_f64 v[24:25], v[24:25], v[52:53]
	v_add_f64 v[135:136], v[135:136], -v[250:251]
	v_add_f64 v[56:57], v[56:57], v[91:92]
	v_add_f64 v[48:49], v[64:65], v[48:49]
	;; [unrolled: 1-line block ×3, first 2 shown]
	v_mul_f64 v[64:65], v[119:120], s[34:35]
	v_add_f64 v[50:51], v[50:51], v[197:198]
	v_add_f64 v[165:166], v[165:166], v[201:202]
	;; [unrolled: 1-line block ×3, first 2 shown]
	v_mul_f64 v[147:148], v[133:134], s[20:21]
	v_add_f64 v[62:63], v[62:63], v[179:180]
	v_mul_f64 v[52:53], v[133:134], s[36:37]
	v_add_f64 v[66:67], v[239:240], -v[66:67]
	v_add_f64 v[34:35], v[103:104], v[34:35]
	v_add_f64 v[60:61], v[171:172], v[60:61]
	v_fma_f64 v[171:172], v[131:132], s[6:7], -v[153:154]
	v_mul_f64 v[239:240], v[133:134], s[38:39]
	v_add_f64 v[81:82], v[177:178], v[81:82]
	v_add_f64 v[68:69], v[167:168], v[68:69]
	v_add_f64 v[113:114], v[113:114], -v[246:247]
	v_add_f64 v[141:142], v[141:142], v[237:238]
	v_mul_f64 v[237:238], v[133:134], s[28:29]
	v_mul_f64 v[133:134], v[133:134], s[42:43]
	v_add_f64 v[143:144], v[231:232], -v[143:144]
	v_add_f64 v[125:126], v[125:126], v[169:170]
	v_add_f64 v[26:27], v[26:27], v[46:47]
	;; [unrolled: 1-line block ×3, first 2 shown]
	v_mul_f64 v[179:180], v[131:132], s[18:19]
	v_add_f64 v[139:140], v[139:140], -v[248:249]
	v_add_f64 v[135:136], v[135:136], v[185:186]
	v_add_f64 v[87:88], v[175:176], v[87:88]
	v_add_f64 v[85:86], v[85:86], -v[147:148]
	v_add_f64 v[32:33], v[56:57], v[32:33]
	v_fma_f64 v[153:154], v[131:132], s[6:7], v[153:154]
	v_add_f64 v[48:49], v[163:164], v[48:49]
	v_add_f64 v[34:35], v[93:94], v[34:35]
	v_mul_f64 v[163:164], v[131:132], s[22:23]
	v_add_f64 v[99:100], v[151:152], v[99:100]
	v_add_f64 v[44:45], v[105:106], v[79:80]
	v_fma_f64 v[54:55], v[145:146], s[8:9], v[64:65]
	v_fma_f64 v[64:65], v[145:146], s[8:9], -v[64:65]
	v_mul_f64 v[145:146], v[131:132], s[4:5]
	v_mul_f64 v[221:222], v[131:132], s[8:9]
	;; [unrolled: 1-line block ×3, first 2 shown]
	v_add_f64 v[127:128], v[181:182], v[127:128]
	v_add_f64 v[46:47], v[111:112], v[173:174]
	;; [unrolled: 1-line block ×6, first 2 shown]
	v_mul_f64 v[171:172], v[123:124], s[30:31]
	v_add_f64 v[58:59], v[70:71], v[58:59]
	v_mul_f64 v[70:71], v[123:124], s[34:35]
	v_mul_f64 v[201:202], v[123:124], s[14:15]
	;; [unrolled: 1-line block ×4, first 2 shown]
	v_add_f64 v[77:78], v[223:224], -v[133:134]
	v_add_f64 v[34:35], v[85:86], v[34:35]
	s_clause 0x1
	buffer_load_dword v85, off, s[48:51], 0
	buffer_load_dword v86, off, s[48:51], 0 offset:4
	v_add_f64 v[66:67], v[66:67], v[68:69]
	v_add_f64 v[79:80], v[205:206], -v[237:238]
	v_add_f64 v[81:82], v[143:144], v[81:82]
	v_add_f64 v[52:53], v[95:96], -v[52:53]
	v_add_f64 v[95:96], v[113:114], v[125:126]
	v_add_f64 v[26:27], v[26:27], v[42:43]
	;; [unrolled: 1-line block ×3, first 2 shown]
	v_mul_f64 v[167:168], v[121:122], s[22:23]
	v_add_f64 v[105:106], v[187:188], -v[239:240]
	v_add_f64 v[111:112], v[139:140], v[135:136]
	v_add_f64 v[83:84], v[179:180], v[83:84]
	;; [unrolled: 1-line block ×4, first 2 shown]
	v_mul_f64 v[153:154], v[121:122], s[8:9]
	v_add_f64 v[89:90], v[163:164], v[89:90]
	v_add_f64 v[40:41], v[99:100], v[44:45]
	;; [unrolled: 1-line block ×3, first 2 shown]
	v_mul_f64 v[155:156], v[121:122], s[6:7]
	v_add_f64 v[68:69], v[131:132], v[215:216]
	v_add_f64 v[131:132], v[145:146], v[149:150]
	;; [unrolled: 1-line block ×3, first 2 shown]
	v_mul_f64 v[231:232], v[121:122], s[26:27]
	v_add_f64 v[103:104], v[221:222], v[199:200]
	v_add_f64 v[44:45], v[203:204], v[50:51]
	v_fma_f64 v[177:178], v[121:122], s[18:19], -v[137:138]
	v_fma_f64 v[137:138], v[121:122], s[18:19], v[137:138]
	v_mul_f64 v[121:122], v[121:122], s[4:5]
	v_add_f64 v[46:47], v[141:142], v[56:57]
	v_mul_f64 v[197:198], v[119:120], s[24:25]
	v_mul_f64 v[243:244], v[119:120], s[38:39]
	;; [unrolled: 1-line block ×4, first 2 shown]
	v_add_f64 v[50:51], v[227:228], -v[123:124]
	v_add_f64 v[56:57], v[77:78], v[66:67]
	v_add_f64 v[77:78], v[213:214], -v[250:251]
	v_add_f64 v[79:80], v[79:80], v[81:82]
	;; [unrolled: 2-line block ×3, first 2 shown]
	v_add_f64 v[26:27], v[26:27], v[38:39]
	v_add_f64 v[24:25], v[24:25], v[36:37]
	v_mul_f64 v[91:92], v[117:118], s[22:23]
	v_add_f64 v[87:88], v[191:192], -v[201:202]
	v_add_f64 v[93:94], v[105:106], v[111:112]
	v_add_f64 v[97:98], v[97:98], -v[171:172]
	v_add_f64 v[32:33], v[83:84], v[32:33]
	v_mul_f64 v[183:184], v[117:118], s[4:5]
	v_add_f64 v[95:96], v[153:154], v[101:102]
	v_add_f64 v[36:37], v[89:90], v[40:41]
	;; [unrolled: 1-line block ×4, first 2 shown]
	v_mul_f64 v[235:236], v[117:118], s[6:7]
	v_add_f64 v[81:82], v[231:232], v[207:208]
	v_add_f64 v[40:41], v[103:104], v[44:45]
	v_fma_f64 v[185:186], v[117:118], s[8:9], -v[129:130]
	v_fma_f64 v[129:130], v[117:118], s[8:9], v[129:130]
	v_mul_f64 v[117:118], v[117:118], s[18:19]
	v_add_f64 v[66:67], v[121:122], v[219:220]
	v_add_f64 v[42:43], v[68:69], v[46:47]
	v_add_f64 v[44:45], v[229:230], -v[119:120]
	v_add_f64 v[46:47], v[50:51], v[56:57]
	v_add_f64 v[50:51], v[211:212], -v[248:249]
	;; [unrolled: 2-line block ×3, first 2 shown]
	v_add_f64 v[52:53], v[70:71], v[52:53]
	v_add_f64 v[26:27], v[26:27], v[30:31]
	;; [unrolled: 1-line block ×5, first 2 shown]
	v_add_f64 v[91:92], v[115:116], -v[197:198]
	v_add_f64 v[34:35], v[97:98], v[34:35]
	v_add_f64 v[93:94], v[241:242], v[109:110]
	;; [unrolled: 1-line block ×4, first 2 shown]
	v_add_f64 v[79:80], v[195:196], -v[233:234]
	v_add_f64 v[38:39], v[99:100], v[38:39]
	v_add_f64 v[77:78], v[235:236], v[209:210]
	;; [unrolled: 1-line block ×11, first 2 shown]
	v_mad_u32_u24 v20, 0xc0, v76, v245
	v_add_f64 v[48:49], v[91:92], v[34:35]
	v_add_f64 v[42:43], v[70:71], v[95:96]
	;; [unrolled: 1-line block ×6, first 2 shown]
	s_waitcnt vmcnt(0)
	v_add_f64 v[85:86], v[167:168], v[85:86]
	v_add_f64 v[85:86], v[85:86], v[32:33]
	;; [unrolled: 1-line block ×8, first 2 shown]
	ds_write_b128 v20, v[50:53]
	ds_write_b128 v20, v[46:49] offset:16
	ds_write_b128 v20, v[42:45] offset:32
	;; [unrolled: 1-line block ×12, first 2 shown]
.LBB0_15:
	s_or_b32 exec_lo, exec_lo, s1
	v_and_b32_e32 v20, 0xff, v76
	v_add_nc_u32_e32 v56, 0xb6, v76
	v_mov_b32_e32 v21, 3
	s_load_dwordx2 s[2:3], s[2:3], 0x0
	s_waitcnt lgkmcnt(0)
	v_mul_lo_u16 v59, 0x4f, v20
	v_mov_b32_e32 v20, 0x4ec5
	s_barrier
	buffer_gl0_inv
	v_mov_b32_e32 v58, 4
	v_lshrrev_b16 v97, 10, v59
	v_mul_u32_u24_sdwa v57, v56, v20 dst_sel:DWORD dst_unused:UNUSED_PAD src0_sel:WORD_0 src1_sel:DWORD
	v_cmp_gt_u32_e64 s0, 26, v76
	v_mul_lo_u16 v20, v97, 13
	v_lshrrev_b32_e32 v98, 18, v57
	v_sub_nc_u16 v99, v76, v20
	v_mul_lo_u16 v20, v98, 13
	v_mul_u32_u24_sdwa v22, v99, v21 dst_sel:DWORD dst_unused:UNUSED_PAD src0_sel:BYTE_0 src1_sel:DWORD
	v_sub_nc_u16 v100, v56, v20
	v_lshlrev_b32_e32 v28, 4, v22
	v_mul_u32_u24_sdwa v24, v100, v21 dst_sel:DWORD dst_unused:UNUSED_PAD src0_sel:WORD_0 src1_sel:DWORD
	global_load_dwordx4 v[20:23], v28, s[12:13]
	v_lshlrev_b32_e32 v40, 4, v24
	s_clause 0x4
	global_load_dwordx4 v[24:27], v28, s[12:13] offset:16
	global_load_dwordx4 v[28:31], v28, s[12:13] offset:32
	global_load_dwordx4 v[32:35], v40, s[12:13]
	global_load_dwordx4 v[36:39], v40, s[12:13] offset:16
	global_load_dwordx4 v[40:43], v40, s[12:13] offset:32
	ds_read_b128 v[44:47], v245 offset:5824
	ds_read_b128 v[48:51], v245 offset:11648
	;; [unrolled: 1-line block ×6, first 2 shown]
	ds_read_b128 v[77:80], v245
	ds_read_b128 v[81:84], v245 offset:2912
	s_waitcnt vmcnt(0) lgkmcnt(0)
	s_barrier
	buffer_gl0_inv
	v_mul_f64 v[87:88], v[50:51], v[26:27]
	v_mul_f64 v[85:86], v[46:47], v[22:23]
	;; [unrolled: 1-line block ×12, first 2 shown]
	v_fma_f64 v[44:45], v[44:45], v[20:21], v[85:86]
	v_fma_f64 v[20:21], v[46:47], v[20:21], -v[22:23]
	v_fma_f64 v[22:23], v[48:49], v[24:25], v[87:88]
	v_fma_f64 v[24:25], v[50:51], v[24:25], -v[26:27]
	v_fma_f64 v[26:27], v[52:53], v[28:29], v[89:90]
	v_fma_f64 v[28:29], v[54:55], v[28:29], -v[30:31]
	v_fma_f64 v[30:31], v[60:61], v[32:33], v[91:92]
	v_fma_f64 v[32:33], v[62:63], v[32:33], -v[34:35]
	v_fma_f64 v[34:35], v[64:65], v[36:37], v[93:94]
	v_fma_f64 v[36:37], v[66:67], v[36:37], -v[38:39]
	v_fma_f64 v[38:39], v[68:69], v[40:41], v[95:96]
	v_fma_f64 v[40:41], v[70:71], v[40:41], -v[42:43]
	v_mov_b32_e32 v64, 0x340
	v_add_f64 v[42:43], v[77:78], -v[22:23]
	v_add_f64 v[46:47], v[79:80], -v[24:25]
	;; [unrolled: 1-line block ×8, first 2 shown]
	v_fma_f64 v[50:51], v[77:78], 2.0, -v[42:43]
	v_fma_f64 v[54:55], v[79:80], 2.0, -v[46:47]
	;; [unrolled: 1-line block ×4, first 2 shown]
	v_add_f64 v[24:25], v[42:43], v[24:25]
	v_add_f64 v[26:27], v[46:47], -v[22:23]
	v_fma_f64 v[60:61], v[81:82], 2.0, -v[48:49]
	v_fma_f64 v[62:63], v[83:84], 2.0, -v[52:53]
	;; [unrolled: 1-line block ×4, first 2 shown]
	v_add_f64 v[20:21], v[48:49], v[28:29]
	v_add_f64 v[22:23], v[52:53], -v[36:37]
	v_add_f64 v[28:29], v[50:51], -v[34:35]
	;; [unrolled: 1-line block ×3, first 2 shown]
	v_fma_f64 v[36:37], v[42:43], 2.0, -v[24:25]
	v_fma_f64 v[38:39], v[46:47], 2.0, -v[26:27]
	v_add_f64 v[32:33], v[60:61], -v[40:41]
	v_add_f64 v[34:35], v[62:63], -v[44:45]
	v_fma_f64 v[40:41], v[48:49], 2.0, -v[20:21]
	v_fma_f64 v[42:43], v[52:53], 2.0, -v[22:23]
	v_mul_u32_u24_sdwa v52, v97, v64 dst_sel:DWORD dst_unused:UNUSED_PAD src0_sel:WORD_0 src1_sel:DWORD
	v_mul_u32_u24_e32 v53, 0x340, v98
	v_fma_f64 v[44:45], v[50:51], 2.0, -v[28:29]
	v_fma_f64 v[46:47], v[54:55], 2.0, -v[30:31]
	v_lshlrev_b32_sdwa v54, v58, v99 dst_sel:DWORD dst_unused:UNUSED_PAD src0_sel:DWORD src1_sel:BYTE_0
	v_lshlrev_b32_sdwa v55, v58, v100 dst_sel:DWORD dst_unused:UNUSED_PAD src0_sel:DWORD src1_sel:WORD_0
	v_fma_f64 v[48:49], v[60:61], 2.0, -v[32:33]
	v_fma_f64 v[50:51], v[62:63], 2.0, -v[34:35]
	v_add3_u32 v52, 0, v52, v54
	v_add3_u32 v53, 0, v53, v55
	ds_write_b128 v52, v[24:27] offset:624
	ds_write_b128 v52, v[36:39] offset:208
	;; [unrolled: 1-line block ×3, first 2 shown]
	ds_write_b128 v52, v[44:47]
	ds_write_b128 v53, v[48:51]
	ds_write_b128 v53, v[40:43] offset:208
	ds_write_b128 v53, v[32:35] offset:416
	;; [unrolled: 1-line block ×3, first 2 shown]
	s_waitcnt lgkmcnt(0)
	s_barrier
	buffer_gl0_inv
	ds_read_b128 v[28:31], v245
	ds_read_b128 v[48:51], v245 offset:3328
	ds_read_b128 v[44:47], v245 offset:6656
	;; [unrolled: 1-line block ×6, first 2 shown]
                                        ; implicit-def: $vgpr26_vgpr27
	s_and_saveexec_b32 s1, s0
	s_cbranch_execz .LBB0_17
; %bb.16:
	ds_read_b128 v[20:23], v245 offset:2912
	ds_read_b128 v[8:11], v245 offset:6240
	ds_read_b128 v[16:19], v245 offset:9568
	ds_read_b128 v[0:3], v245 offset:12896
	ds_read_b128 v[4:7], v245 offset:16224
	ds_read_b128 v[12:15], v245 offset:19552
	ds_read_b128 v[24:27], v245 offset:22880
.LBB0_17:
	s_or_b32 exec_lo, exec_lo, s1
	v_lshrrev_b16 v71, 12, v59
	v_mov_b32_e32 v60, 6
	s_mov_b32 s8, 0x37e14327
	s_mov_b32 s16, 0xe976ee23
	;; [unrolled: 1-line block ×3, first 2 shown]
	v_mul_lo_u16 v59, v71, 52
	s_mov_b32 s17, 0x3fe11646
	s_mov_b32 s6, 0x429ad128
	;; [unrolled: 1-line block ×4, first 2 shown]
	v_sub_nc_u16 v101, v76, v59
	s_mov_b32 s5, 0x3fac98ee
	s_mov_b32 s14, 0xaaaaaaaa
	;; [unrolled: 1-line block ×4, first 2 shown]
	v_mul_u32_u24_sdwa v59, v101, v60 dst_sel:DWORD dst_unused:UNUSED_PAD src0_sel:BYTE_0 src1_sel:DWORD
	s_mov_b32 s18, 0x5476071b
	s_mov_b32 s23, 0xbfd5d0dc
	;; [unrolled: 1-line block ×4, first 2 shown]
	v_lshlrev_b32_e32 v85, 4, v59
	s_mov_b32 s25, 0x3fd5d0dc
	s_mov_b32 s20, s18
	;; [unrolled: 1-line block ×4, first 2 shown]
	s_clause 0x5
	global_load_dwordx4 v[59:62], v85, s[12:13] offset:624
	global_load_dwordx4 v[63:66], v85, s[12:13] offset:640
	;; [unrolled: 1-line block ×6, first 2 shown]
	s_mov_b32 s27, 0xbfdc38aa
	v_lshlrev_b32_sdwa v58, v58, v101 dst_sel:DWORD dst_unused:UNUSED_PAD src0_sel:DWORD src1_sel:BYTE_0
	s_waitcnt vmcnt(0) lgkmcnt(0)
	s_barrier
	buffer_gl0_inv
	v_mul_f64 v[89:90], v[50:51], v[61:62]
	v_mul_f64 v[61:62], v[48:49], v[61:62]
	;; [unrolled: 1-line block ×12, first 2 shown]
	v_fma_f64 v[48:49], v[48:49], v[59:60], v[89:90]
	v_fma_f64 v[50:51], v[50:51], v[59:60], -v[61:62]
	v_fma_f64 v[44:45], v[44:45], v[63:64], v[91:92]
	v_fma_f64 v[46:47], v[46:47], v[63:64], -v[65:66]
	;; [unrolled: 2-line block ×6, first 2 shown]
	v_add_f64 v[59:60], v[48:49], v[52:53]
	v_add_f64 v[61:62], v[50:51], v[54:55]
	;; [unrolled: 1-line block ×4, first 2 shown]
	v_add_f64 v[40:41], v[44:45], -v[40:41]
	v_add_f64 v[42:43], v[46:47], -v[42:43]
	v_add_f64 v[44:45], v[36:37], v[32:33]
	v_add_f64 v[46:47], v[38:39], v[34:35]
	v_add_f64 v[32:33], v[32:33], -v[36:37]
	v_add_f64 v[34:35], v[34:35], -v[38:39]
	;; [unrolled: 1-line block ×4, first 2 shown]
	v_add_f64 v[48:49], v[63:64], v[59:60]
	v_add_f64 v[50:51], v[65:66], v[61:62]
	v_add_f64 v[52:53], v[59:60], -v[44:45]
	v_add_f64 v[54:55], v[61:62], -v[46:47]
	;; [unrolled: 1-line block ×6, first 2 shown]
	v_add_f64 v[40:41], v[32:33], v[40:41]
	v_add_f64 v[42:43], v[34:35], v[42:43]
	v_add_f64 v[32:33], v[36:37], -v[32:33]
	v_add_f64 v[34:35], v[38:39], -v[34:35]
	;; [unrolled: 1-line block ×4, first 2 shown]
	v_add_f64 v[48:49], v[44:45], v[48:49]
	v_add_f64 v[50:51], v[46:47], v[50:51]
	v_add_f64 v[44:45], v[44:45], -v[63:64]
	v_add_f64 v[46:47], v[46:47], -v[65:66]
	v_mul_f64 v[52:53], v[52:53], s[8:9]
	v_mul_f64 v[54:55], v[54:55], s[8:9]
	v_mul_f64 v[67:68], v[67:68], s[16:17]
	v_mul_f64 v[69:70], v[69:70], s[16:17]
	v_mul_f64 v[81:82], v[77:78], s[6:7]
	v_mul_f64 v[83:84], v[79:80], s[6:7]
	v_add_f64 v[36:37], v[40:41], v[36:37]
	v_add_f64 v[38:39], v[42:43], v[38:39]
	;; [unrolled: 1-line block ×4, first 2 shown]
	v_mul_f64 v[63:64], v[44:45], s[4:5]
	v_mul_f64 v[65:66], v[46:47], s[4:5]
	v_fma_f64 v[40:41], v[44:45], s[4:5], v[52:53]
	v_fma_f64 v[42:43], v[46:47], s[4:5], v[54:55]
	;; [unrolled: 1-line block ×4, first 2 shown]
	v_fma_f64 v[67:68], v[77:78], s[6:7], -v[67:68]
	v_fma_f64 v[69:70], v[79:80], s[6:7], -v[69:70]
	;; [unrolled: 1-line block ×6, first 2 shown]
	v_fma_f64 v[48:49], v[48:49], s[14:15], v[28:29]
	v_fma_f64 v[50:51], v[50:51], s[14:15], v[30:31]
	v_fma_f64 v[59:60], v[59:60], s[18:19], -v[63:64]
	v_fma_f64 v[61:62], v[61:62], s[18:19], -v[65:66]
	v_fma_f64 v[63:64], v[36:37], s[26:27], v[44:45]
	v_fma_f64 v[65:66], v[38:39], s[26:27], v[46:47]
	v_fma_f64 v[46:47], v[36:37], s[26:27], v[67:68]
	v_fma_f64 v[44:45], v[38:39], s[26:27], v[69:70]
	v_fma_f64 v[67:68], v[36:37], s[26:27], v[32:33]
	v_fma_f64 v[69:70], v[38:39], s[26:27], v[34:35]
	v_add_f64 v[77:78], v[40:41], v[48:49]
	v_add_f64 v[79:80], v[42:43], v[50:51]
	v_add_f64 v[52:53], v[52:53], v[48:49]
	v_add_f64 v[54:55], v[54:55], v[50:51]
	v_add_f64 v[48:49], v[59:60], v[48:49]
	v_add_f64 v[50:51], v[61:62], v[50:51]
	v_mov_b32_e32 v59, 0x16c0
	v_mul_u32_u24_sdwa v59, v71, v59 dst_sel:DWORD dst_unused:UNUSED_PAD src0_sel:WORD_0 src1_sel:DWORD
	v_add3_u32 v58, 0, v59, v58
	v_add_f64 v[32:33], v[65:66], v[77:78]
	v_add_f64 v[34:35], v[79:80], -v[63:64]
	v_add_f64 v[36:37], v[69:70], v[52:53]
	v_add_f64 v[38:39], v[54:55], -v[67:68]
	v_add_f64 v[40:41], v[48:49], -v[44:45]
	v_add_f64 v[42:43], v[46:47], v[50:51]
	v_add_f64 v[44:45], v[44:45], v[48:49]
	v_add_f64 v[46:47], v[50:51], -v[46:47]
	v_add_f64 v[48:49], v[52:53], -v[69:70]
	v_add_f64 v[50:51], v[67:68], v[54:55]
	v_add_f64 v[52:53], v[77:78], -v[65:66]
	v_add_f64 v[54:55], v[63:64], v[79:80]
	ds_write_b128 v58, v[28:31]
	ds_write_b128 v58, v[32:35] offset:832
	ds_write_b128 v58, v[36:39] offset:1664
	;; [unrolled: 1-line block ×6, first 2 shown]
	s_and_saveexec_b32 s1, s0
	s_cbranch_execz .LBB0_19
; %bb.18:
	v_lshrrev_b32_e32 v28, 20, v57
	v_mul_lo_u16 v28, v28, 52
	v_sub_nc_u16 v28, v56, v28
	v_and_b32_e32 v65, 0xffff, v28
	v_mul_u32_u24_e32 v28, 6, v65
	v_lshlrev_b32_e32 v48, 4, v28
	s_clause 0x5
	global_load_dwordx4 v[28:31], v48, s[12:13] offset:640
	global_load_dwordx4 v[32:35], v48, s[12:13] offset:688
	;; [unrolled: 1-line block ×6, first 2 shown]
	s_waitcnt vmcnt(5)
	v_mul_f64 v[52:53], v[16:17], v[30:31]
	s_waitcnt vmcnt(4)
	v_mul_f64 v[54:55], v[12:13], v[34:35]
	;; [unrolled: 2-line block ×4, first 2 shown]
	v_mul_f64 v[30:31], v[18:19], v[30:31]
	v_mul_f64 v[34:35], v[14:15], v[34:35]
	;; [unrolled: 1-line block ×4, first 2 shown]
	s_waitcnt vmcnt(1)
	v_mul_f64 v[61:62], v[6:7], v[46:47]
	s_waitcnt vmcnt(0)
	v_mul_f64 v[63:64], v[2:3], v[50:51]
	v_mul_f64 v[50:51], v[0:1], v[50:51]
	;; [unrolled: 1-line block ×3, first 2 shown]
	v_fma_f64 v[18:19], v[18:19], v[28:29], -v[52:53]
	v_fma_f64 v[14:15], v[14:15], v[32:33], -v[54:55]
	;; [unrolled: 1-line block ×4, first 2 shown]
	v_fma_f64 v[16:17], v[16:17], v[28:29], v[30:31]
	v_fma_f64 v[12:13], v[12:13], v[32:33], v[34:35]
	;; [unrolled: 1-line block ×6, first 2 shown]
	v_fma_f64 v[2:3], v[2:3], v[48:49], -v[50:51]
	v_fma_f64 v[6:7], v[6:7], v[44:45], -v[46:47]
	v_add_f64 v[28:29], v[18:19], v[14:15]
	v_add_f64 v[30:31], v[10:11], v[26:27]
	v_add_f64 v[10:11], v[10:11], -v[26:27]
	v_add_f64 v[32:33], v[16:17], v[12:13]
	v_add_f64 v[12:13], v[16:17], -v[12:13]
	v_add_f64 v[34:35], v[8:9], v[24:25]
	v_add_f64 v[36:37], v[4:5], -v[0:1]
	v_add_f64 v[0:1], v[0:1], v[4:5]
	v_add_f64 v[16:17], v[2:3], v[6:7]
	v_add_f64 v[4:5], v[8:9], -v[24:25]
	v_add_f64 v[2:3], v[6:7], -v[2:3]
	;; [unrolled: 1-line block ×3, first 2 shown]
	v_add_f64 v[8:9], v[28:29], v[30:31]
	v_add_f64 v[14:15], v[32:33], v[34:35]
	v_add_f64 v[18:19], v[36:37], -v[12:13]
	v_add_f64 v[26:27], v[34:35], -v[0:1]
	;; [unrolled: 1-line block ×7, first 2 shown]
	v_add_f64 v[12:13], v[36:37], v[12:13]
	v_add_f64 v[36:37], v[4:5], -v[36:37]
	v_add_f64 v[6:7], v[2:3], v[6:7]
	v_add_f64 v[48:49], v[10:11], -v[2:3]
	;; [unrolled: 2-line block ×3, first 2 shown]
	v_add_f64 v[14:15], v[0:1], v[14:15]
	v_mul_f64 v[18:19], v[18:19], s[16:17]
	v_mul_f64 v[26:27], v[26:27], s[8:9]
	v_mul_f64 v[24:25], v[24:25], s[8:9]
	v_mul_f64 v[46:47], v[38:39], s[6:7]
	v_add_f64 v[4:5], v[12:13], v[4:5]
	v_add_f64 v[6:7], v[6:7], v[10:11]
	;; [unrolled: 1-line block ×3, first 2 shown]
	v_add_f64 v[22:23], v[28:29], -v[30:31]
	v_mul_f64 v[28:29], v[16:17], s[4:5]
	v_mul_f64 v[30:31], v[40:41], s[16:17]
	v_add_f64 v[0:1], v[20:21], v[14:15]
	v_mul_f64 v[40:41], v[42:43], s[6:7]
	v_add_f64 v[20:21], v[32:33], -v[34:35]
	v_mul_f64 v[32:33], v[44:45], s[4:5]
	v_fma_f64 v[10:11], v[36:37], s[22:23], v[18:19]
	v_fma_f64 v[12:13], v[16:17], s[4:5], v[24:25]
	;; [unrolled: 1-line block ×3, first 2 shown]
	v_fma_f64 v[34:35], v[36:37], s[24:25], -v[46:47]
	v_fma_f64 v[18:19], v[38:39], s[6:7], -v[18:19]
	v_fma_f64 v[8:9], v[8:9], s[14:15], v[2:3]
	v_fma_f64 v[24:25], v[22:23], s[20:21], -v[24:25]
	v_fma_f64 v[22:23], v[22:23], s[18:19], -v[28:29]
	v_fma_f64 v[28:29], v[48:49], s[22:23], v[30:31]
	v_fma_f64 v[14:15], v[14:15], s[14:15], v[0:1]
	v_fma_f64 v[36:37], v[48:49], s[24:25], -v[40:41]
	v_fma_f64 v[26:27], v[20:21], s[20:21], -v[26:27]
	;; [unrolled: 1-line block ×4, first 2 shown]
	v_fma_f64 v[32:33], v[4:5], s[26:27], v[10:11]
	v_fma_f64 v[34:35], v[4:5], s[26:27], v[34:35]
	;; [unrolled: 1-line block ×3, first 2 shown]
	v_add_f64 v[12:13], v[12:13], v[8:9]
	v_add_f64 v[24:25], v[24:25], v[8:9]
	;; [unrolled: 1-line block ×3, first 2 shown]
	v_fma_f64 v[28:29], v[6:7], s[26:27], v[28:29]
	v_add_f64 v[38:39], v[16:17], v[14:15]
	v_fma_f64 v[36:37], v[6:7], s[26:27], v[36:37]
	v_add_f64 v[40:41], v[26:27], v[14:15]
	;; [unrolled: 2-line block ×3, first 2 shown]
	v_add_f64 v[26:27], v[12:13], -v[32:33]
	v_add_f64 v[10:11], v[34:35], v[24:25]
	v_add_f64 v[22:23], v[24:25], -v[34:35]
	v_add_f64 v[18:19], v[4:5], v[8:9]
	v_add_f64 v[24:25], v[28:29], v[38:39]
	;; [unrolled: 1-line block ×4, first 2 shown]
	v_add_f64 v[14:15], v[8:9], -v[4:5]
	v_add_f64 v[16:17], v[42:43], -v[30:31]
	v_add_f64 v[12:13], v[30:31], v[42:43]
	v_add_f64 v[8:9], v[40:41], -v[36:37]
	v_add_f64 v[4:5], v[38:39], -v[28:29]
	v_lshl_add_u32 v28, v65, 4, 0
	ds_write_b128 v28, v[0:3] offset:17472
	ds_write_b128 v28, v[24:27] offset:18304
	;; [unrolled: 1-line block ×7, first 2 shown]
.LBB0_19:
	s_or_b32 exec_lo, exec_lo, s1
	v_mov_b32_e32 v77, 0
	s_waitcnt lgkmcnt(0)
	s_barrier
	buffer_gl0_inv
	s_add_u32 s1, s12, 0x5a30
	v_lshlrev_b64 v[2:3], 4, v[76:77]
	s_addc_u32 s4, s13, 0
	s_mov_b32 s5, exec_lo
	v_add_co_u32 v46, s0, s12, v2
	v_add_co_ci_u32_e64 v47, s0, s13, v3, s0
	v_add_co_u32 v0, s0, 0x1000, v46
	v_add_co_ci_u32_e64 v1, s0, 0, v47, s0
	;; [unrolled: 2-line block ×3, first 2 shown]
	s_clause 0x1
	global_load_dwordx4 v[4:7], v[0:1], off offset:1520
	global_load_dwordx4 v[8:11], v[8:9], off offset:336
	ds_read_b128 v[12:15], v245 offset:11648
	ds_read_b128 v[16:19], v245 offset:14560
	;; [unrolled: 1-line block ×4, first 2 shown]
	ds_read_b128 v[28:31], v245
	ds_read_b128 v[32:35], v245 offset:2912
	s_waitcnt vmcnt(1) lgkmcnt(5)
	v_mul_f64 v[0:1], v[14:15], v[6:7]
	v_mul_f64 v[36:37], v[12:13], v[6:7]
	s_waitcnt vmcnt(0) lgkmcnt(4)
	v_mul_f64 v[38:39], v[18:19], v[10:11]
	v_mul_f64 v[40:41], v[16:17], v[10:11]
	s_waitcnt lgkmcnt(3)
	v_mul_f64 v[42:43], v[22:23], v[6:7]
	v_mul_f64 v[6:7], v[20:21], v[6:7]
	s_waitcnt lgkmcnt(2)
	v_mul_f64 v[44:45], v[26:27], v[10:11]
	v_mul_f64 v[10:11], v[24:25], v[10:11]
	v_fma_f64 v[0:1], v[12:13], v[4:5], v[0:1]
	v_fma_f64 v[14:15], v[14:15], v[4:5], -v[36:37]
	v_fma_f64 v[16:17], v[16:17], v[8:9], v[38:39]
	v_fma_f64 v[18:19], v[18:19], v[8:9], -v[40:41]
	;; [unrolled: 2-line block ×4, first 2 shown]
	ds_read_b128 v[4:7], v245 offset:5824
	ds_read_b128 v[8:11], v245 offset:8736
	s_waitcnt lgkmcnt(0)
	s_barrier
	buffer_gl0_inv
	v_add_f64 v[12:13], v[28:29], -v[0:1]
	v_add_f64 v[14:15], v[30:31], -v[14:15]
	;; [unrolled: 1-line block ×4, first 2 shown]
	v_add_co_u32 v0, s0, 0x2800, v46
	v_add_f64 v[20:21], v[4:5], -v[20:21]
	v_add_f64 v[22:23], v[6:7], -v[22:23]
	;; [unrolled: 1-line block ×4, first 2 shown]
	v_add_co_ci_u32_e64 v1, s0, 0, v47, s0
	v_add_co_u32 v36, s0, 0x3800, v46
	v_add_co_ci_u32_e64 v37, s0, 0, v47, s0
	v_add_co_u32 v38, s0, 0x4000, v46
	v_add_co_ci_u32_e64 v39, s0, 0, v47, s0
	v_fma_f64 v[28:29], v[28:29], 2.0, -v[12:13]
	v_fma_f64 v[30:31], v[30:31], 2.0, -v[14:15]
	v_fma_f64 v[32:33], v[32:33], 2.0, -v[16:17]
	v_fma_f64 v[34:35], v[34:35], 2.0, -v[18:19]
	v_fma_f64 v[4:5], v[4:5], 2.0, -v[20:21]
	v_fma_f64 v[6:7], v[6:7], 2.0, -v[22:23]
	v_fma_f64 v[8:9], v[8:9], 2.0, -v[24:25]
	v_fma_f64 v[10:11], v[10:11], 2.0, -v[26:27]
	ds_write_b128 v245, v[12:15] offset:5824
	ds_write_b128 v245, v[16:19] offset:8736
	;; [unrolled: 1-line block ×4, first 2 shown]
	ds_write_b128 v245, v[28:31]
	ds_write_b128 v245, v[32:35] offset:2912
	ds_write_b128 v245, v[4:7] offset:11648
	;; [unrolled: 1-line block ×3, first 2 shown]
	s_waitcnt lgkmcnt(0)
	s_barrier
	buffer_gl0_inv
	global_load_dwordx4 v[4:7], v[0:1], off offset:1200
	v_add_co_u32 v0, s0, 0x4800, v46
	v_add_co_ci_u32_e64 v1, s0, 0, v47, s0
	s_clause 0x2
	global_load_dwordx4 v[8:11], v[36:37], off offset:16
	global_load_dwordx4 v[12:15], v[38:39], off offset:880
	;; [unrolled: 1-line block ×3, first 2 shown]
	ds_read_b128 v[20:23], v245 offset:11648
	ds_read_b128 v[24:27], v245 offset:14560
	;; [unrolled: 1-line block ×4, first 2 shown]
	ds_read_b128 v[36:39], v245
	ds_read_b128 v[40:43], v245 offset:2912
	s_waitcnt vmcnt(3) lgkmcnt(5)
	v_mul_f64 v[0:1], v[22:23], v[6:7]
	v_mul_f64 v[6:7], v[20:21], v[6:7]
	s_waitcnt vmcnt(2) lgkmcnt(4)
	v_mul_f64 v[44:45], v[26:27], v[10:11]
	v_mul_f64 v[10:11], v[24:25], v[10:11]
	;; [unrolled: 3-line block ×4, first 2 shown]
	v_fma_f64 v[0:1], v[20:21], v[4:5], v[0:1]
	v_fma_f64 v[20:21], v[22:23], v[4:5], -v[6:7]
	ds_read_b128 v[4:7], v245 offset:5824
	v_fma_f64 v[22:23], v[24:25], v[8:9], v[44:45]
	v_fma_f64 v[24:25], v[26:27], v[8:9], -v[10:11]
	ds_read_b128 v[8:11], v245 offset:8736
	v_fma_f64 v[26:27], v[28:29], v[12:13], v[46:47]
	v_fma_f64 v[28:29], v[30:31], v[12:13], -v[14:15]
	v_fma_f64 v[30:31], v[32:33], v[16:17], v[48:49]
	v_fma_f64 v[32:33], v[34:35], v[16:17], -v[18:19]
	s_waitcnt lgkmcnt(0)
	s_barrier
	buffer_gl0_inv
	v_add_f64 v[12:13], v[36:37], -v[0:1]
	v_add_f64 v[14:15], v[38:39], -v[20:21]
	v_lshlrev_b32_e32 v0, 4, v76
	v_add_f64 v[16:17], v[40:41], -v[22:23]
	v_add_f64 v[18:19], v[42:43], -v[24:25]
	;; [unrolled: 1-line block ×6, first 2 shown]
	v_fma_f64 v[28:29], v[36:37], 2.0, -v[12:13]
	v_fma_f64 v[30:31], v[38:39], 2.0, -v[14:15]
	;; [unrolled: 1-line block ×8, first 2 shown]
	ds_write_b128 v245, v[12:15] offset:11648
	ds_write_b128 v245, v[16:19] offset:14560
	;; [unrolled: 1-line block ×4, first 2 shown]
	ds_write_b128 v245, v[28:31]
	ds_write_b128 v245, v[32:35] offset:2912
	ds_write_b128 v245, v[4:7] offset:5824
	;; [unrolled: 1-line block ×3, first 2 shown]
	s_waitcnt lgkmcnt(0)
	s_barrier
	buffer_gl0_inv
	ds_read_b128 v[4:7], v245
	v_sub_nc_u32_e32 v12, 0, v0
                                        ; implicit-def: $vgpr0_vgpr1
                                        ; implicit-def: $vgpr8_vgpr9
                                        ; implicit-def: $vgpr10_vgpr11
	v_cmpx_ne_u32_e32 0, v76
	s_xor_b32 s5, exec_lo, s5
	s_cbranch_execz .LBB0_21
; %bb.20:
	v_add_co_u32 v0, s0, s1, v2
	v_add_co_ci_u32_e64 v1, s0, s4, v3, s0
	global_load_dwordx4 v[13:16], v[0:1], off
	ds_read_b128 v[0:3], v12 offset:23296
	s_waitcnt lgkmcnt(0)
	v_add_f64 v[8:9], v[4:5], -v[0:1]
	v_add_f64 v[10:11], v[6:7], v[2:3]
	v_add_f64 v[2:3], v[6:7], -v[2:3]
	v_add_f64 v[0:1], v[4:5], v[0:1]
	v_mul_f64 v[6:7], v[8:9], 0.5
	v_mul_f64 v[4:5], v[10:11], 0.5
	;; [unrolled: 1-line block ×3, first 2 shown]
	s_waitcnt vmcnt(0)
	v_mul_f64 v[8:9], v[6:7], v[15:16]
	v_fma_f64 v[10:11], v[4:5], v[15:16], v[2:3]
	v_fma_f64 v[2:3], v[4:5], v[15:16], -v[2:3]
	v_fma_f64 v[17:18], v[0:1], 0.5, v[8:9]
	v_fma_f64 v[0:1], v[0:1], 0.5, -v[8:9]
	v_fma_f64 v[10:11], -v[13:14], v[6:7], v[10:11]
	v_fma_f64 v[2:3], -v[13:14], v[6:7], v[2:3]
	v_fma_f64 v[8:9], v[4:5], v[13:14], v[17:18]
	v_fma_f64 v[0:1], -v[4:5], v[13:14], v[0:1]
                                        ; implicit-def: $vgpr4_vgpr5
.LBB0_21:
	s_andn2_saveexec_b32 s0, s5
	s_cbranch_execz .LBB0_23
; %bb.22:
	v_mov_b32_e32 v15, 0
	s_waitcnt lgkmcnt(0)
	v_add_f64 v[8:9], v[4:5], v[6:7]
	v_add_f64 v[0:1], v[4:5], -v[6:7]
	v_mov_b32_e32 v10, 0
	v_mov_b32_e32 v11, 0
	ds_read_b64 v[13:14], v15 offset:11656
	v_mov_b32_e32 v2, v10
	v_mov_b32_e32 v3, v11
	s_waitcnt lgkmcnt(0)
	v_xor_b32_e32 v14, 0x80000000, v14
	ds_write_b64 v15, v[13:14] offset:11656
.LBB0_23:
	s_or_b32 exec_lo, exec_lo, s0
	v_mov_b32_e32 v57, 0
	v_add_nc_u32_e32 v13, 0x16c, v76
	v_add_nc_u32_e32 v17, 0x222, v76
	ds_write2_b64 v245, v[8:9], v[10:11] offset1:1
	ds_write_b128 v12, v[0:3] offset:23296
	s_waitcnt lgkmcnt(2)
	v_lshlrev_b64 v[4:5], 4, v[56:57]
	v_mov_b32_e32 v14, v57
	v_mov_b32_e32 v18, v57
	v_lshlrev_b64 v[13:14], 4, v[13:14]
	v_add_co_u32 v4, s0, s1, v4
	v_add_co_ci_u32_e64 v5, s0, s4, v5, s0
	v_lshlrev_b64 v[17:18], 4, v[17:18]
	v_add_co_u32 v13, s0, s1, v13
	global_load_dwordx4 v[4:7], v[4:5], off
	v_add_co_ci_u32_e64 v14, s0, s4, v14, s0
	v_add_co_u32 v17, s0, s1, v17
	v_add_co_ci_u32_e64 v18, s0, s4, v18, s0
	global_load_dwordx4 v[13:16], v[13:14], off
	ds_read_b128 v[0:3], v245 offset:2912
	ds_read_b128 v[8:11], v12 offset:20384
	global_load_dwordx4 v[17:20], v[17:18], off
	s_waitcnt lgkmcnt(0)
	v_add_f64 v[21:22], v[0:1], -v[8:9]
	v_add_f64 v[23:24], v[2:3], v[10:11]
	v_add_f64 v[2:3], v[2:3], -v[10:11]
	v_add_f64 v[0:1], v[0:1], v[8:9]
	v_mul_f64 v[10:11], v[21:22], 0.5
	v_mul_f64 v[21:22], v[23:24], 0.5
	;; [unrolled: 1-line block ×3, first 2 shown]
	s_waitcnt vmcnt(2)
	v_mul_f64 v[8:9], v[10:11], v[6:7]
	v_fma_f64 v[23:24], v[21:22], v[6:7], v[2:3]
	v_fma_f64 v[2:3], v[21:22], v[6:7], -v[2:3]
	v_fma_f64 v[6:7], v[0:1], 0.5, v[8:9]
	v_fma_f64 v[0:1], v[0:1], 0.5, -v[8:9]
	v_fma_f64 v[8:9], -v[4:5], v[10:11], v[23:24]
	v_fma_f64 v[2:3], -v[4:5], v[10:11], v[2:3]
	v_fma_f64 v[6:7], v[21:22], v[4:5], v[6:7]
	v_fma_f64 v[0:1], -v[21:22], v[4:5], v[0:1]
	v_add_nc_u32_e32 v4, 0x800, v245
	ds_write2_b64 v4, v[6:7], v[8:9] offset0:108 offset1:109
	ds_write_b128 v12, v[0:3] offset:20384
	ds_read_b128 v[0:3], v245 offset:5824
	ds_read_b128 v[4:7], v12 offset:17472
	s_waitcnt lgkmcnt(0)
	v_add_f64 v[8:9], v[0:1], -v[4:5]
	v_add_f64 v[10:11], v[2:3], v[6:7]
	v_add_f64 v[2:3], v[2:3], -v[6:7]
	v_add_f64 v[0:1], v[0:1], v[4:5]
	v_mul_f64 v[6:7], v[8:9], 0.5
	v_mul_f64 v[8:9], v[10:11], 0.5
	;; [unrolled: 1-line block ×3, first 2 shown]
	s_waitcnt vmcnt(1)
	v_mul_f64 v[4:5], v[6:7], v[15:16]
	v_fma_f64 v[10:11], v[8:9], v[15:16], v[2:3]
	v_fma_f64 v[2:3], v[8:9], v[15:16], -v[2:3]
	v_fma_f64 v[15:16], v[0:1], 0.5, v[4:5]
	v_fma_f64 v[0:1], v[0:1], 0.5, -v[4:5]
	v_fma_f64 v[4:5], -v[13:14], v[6:7], v[10:11]
	v_fma_f64 v[2:3], -v[13:14], v[6:7], v[2:3]
	v_fma_f64 v[6:7], v[8:9], v[13:14], v[15:16]
	v_fma_f64 v[0:1], -v[8:9], v[13:14], v[0:1]
	v_add_nc_u32_e32 v8, 0x1000, v245
	ds_write2_b64 v8, v[6:7], v[4:5] offset0:216 offset1:217
	ds_write_b128 v12, v[0:3] offset:17472
	ds_read_b128 v[0:3], v245 offset:8736
	ds_read_b128 v[4:7], v12 offset:14560
	s_waitcnt lgkmcnt(0)
	v_add_f64 v[8:9], v[0:1], -v[4:5]
	v_add_f64 v[10:11], v[2:3], v[6:7]
	v_add_f64 v[2:3], v[2:3], -v[6:7]
	v_add_f64 v[0:1], v[0:1], v[4:5]
	v_mul_f64 v[6:7], v[8:9], 0.5
	v_mul_f64 v[8:9], v[10:11], 0.5
	;; [unrolled: 1-line block ×3, first 2 shown]
	s_waitcnt vmcnt(0)
	v_mul_f64 v[4:5], v[6:7], v[19:20]
	v_fma_f64 v[10:11], v[8:9], v[19:20], v[2:3]
	v_fma_f64 v[2:3], v[8:9], v[19:20], -v[2:3]
	v_fma_f64 v[13:14], v[0:1], 0.5, v[4:5]
	v_fma_f64 v[0:1], v[0:1], 0.5, -v[4:5]
	v_fma_f64 v[4:5], -v[17:18], v[6:7], v[10:11]
	v_fma_f64 v[2:3], -v[17:18], v[6:7], v[2:3]
	v_fma_f64 v[6:7], v[8:9], v[17:18], v[13:14]
	v_fma_f64 v[0:1], -v[8:9], v[17:18], v[0:1]
	v_add_nc_u32_e32 v8, 0x2000, v245
	ds_write2_b64 v8, v[6:7], v[4:5] offset0:68 offset1:69
	ds_write_b128 v12, v[0:3] offset:14560
	s_waitcnt lgkmcnt(0)
	s_barrier
	buffer_gl0_inv
	s_and_saveexec_b32 s0, vcc_lo
	s_cbranch_execz .LBB0_26
; %bb.24:
	v_mul_lo_u32 v2, s3, v74
	v_mul_lo_u32 v3, s2, v75
	v_mad_u64_u32 v[0:1], null, s2, v74, 0
	v_lshl_add_u32 v26, v76, 4, 0
	v_add_nc_u32_e32 v56, 0xb6, v76
	v_mov_b32_e32 v77, v57
	v_lshlrev_b64 v[18:19], 4, v[72:73]
	v_add3_u32 v1, v1, v3, v2
	ds_read_b128 v[2:5], v26
	ds_read_b128 v[6:9], v26 offset:2912
	v_lshlrev_b64 v[22:23], 4, v[56:57]
	v_add_nc_u32_e32 v56, 0x16c, v76
	v_lshlrev_b64 v[20:21], 4, v[76:77]
	v_lshlrev_b64 v[0:1], 4, v[0:1]
	ds_read_b128 v[10:13], v26 offset:5824
	ds_read_b128 v[14:17], v26 offset:8736
	v_add_co_u32 v0, vcc_lo, s10, v0
	v_add_co_ci_u32_e32 v1, vcc_lo, s11, v1, vcc_lo
	v_add_co_u32 v0, vcc_lo, v0, v18
	v_add_co_ci_u32_e32 v1, vcc_lo, v1, v19, vcc_lo
	v_lshlrev_b64 v[18:19], 4, v[56:57]
	v_add_nc_u32_e32 v56, 0x222, v76
	v_add_co_u32 v20, vcc_lo, v0, v20
	v_add_co_ci_u32_e32 v21, vcc_lo, v1, v21, vcc_lo
	v_lshlrev_b64 v[24:25], 4, v[56:57]
	v_add_nc_u32_e32 v56, 0x2d8, v76
	v_add_co_u32 v22, vcc_lo, v0, v22
	v_add_co_ci_u32_e32 v23, vcc_lo, v1, v23, vcc_lo
	v_add_co_u32 v18, vcc_lo, v0, v18
	s_waitcnt lgkmcnt(3)
	global_store_dwordx4 v[20:21], v[2:5], off
	v_lshlrev_b64 v[2:3], 4, v[56:57]
	v_add_nc_u32_e32 v56, 0x38e, v76
	v_add_co_ci_u32_e32 v19, vcc_lo, v1, v19, vcc_lo
	v_add_co_u32 v24, vcc_lo, v0, v24
	v_add_co_ci_u32_e32 v25, vcc_lo, v1, v25, vcc_lo
	v_lshlrev_b64 v[20:21], 4, v[56:57]
	v_add_nc_u32_e32 v56, 0x444, v76
	s_waitcnt lgkmcnt(2)
	global_store_dwordx4 v[22:23], v[6:9], off
	s_waitcnt lgkmcnt(1)
	global_store_dwordx4 v[18:19], v[10:13], off
	;; [unrolled: 2-line block ×3, first 2 shown]
	v_add_co_u32 v18, vcc_lo, v0, v2
	v_add_co_ci_u32_e32 v19, vcc_lo, v1, v3, vcc_lo
	ds_read_b128 v[2:5], v26 offset:11648
	ds_read_b128 v[6:9], v26 offset:14560
	;; [unrolled: 1-line block ×4, first 2 shown]
	v_lshlrev_b64 v[22:23], 4, v[56:57]
	v_add_nc_u32_e32 v56, 0x4fa, v76
	v_add_co_u32 v20, vcc_lo, v0, v20
	v_add_co_ci_u32_e32 v21, vcc_lo, v1, v21, vcc_lo
	v_lshlrev_b64 v[24:25], 4, v[56:57]
	v_add_co_u32 v22, vcc_lo, v0, v22
	v_add_co_ci_u32_e32 v23, vcc_lo, v1, v23, vcc_lo
	v_add_co_u32 v24, vcc_lo, v0, v24
	v_add_co_ci_u32_e32 v25, vcc_lo, v1, v25, vcc_lo
	v_cmp_eq_u32_e32 vcc_lo, 0xb5, v76
	s_waitcnt lgkmcnt(3)
	global_store_dwordx4 v[18:19], v[2:5], off
	s_waitcnt lgkmcnt(2)
	global_store_dwordx4 v[20:21], v[6:9], off
	;; [unrolled: 2-line block ×4, first 2 shown]
	s_and_b32 exec_lo, exec_lo, vcc_lo
	s_cbranch_execz .LBB0_26
; %bb.25:
	v_mov_b32_e32 v2, 0
	v_add_co_u32 v0, vcc_lo, 0x5800, v0
	v_add_co_ci_u32_e32 v1, vcc_lo, 0, v1, vcc_lo
	ds_read_b128 v[2:5], v2 offset:23296
	s_waitcnt lgkmcnt(0)
	global_store_dwordx4 v[0:1], v[2:5], off offset:768
.LBB0_26:
	s_endpgm
	.section	.rodata,"a",@progbits
	.p2align	6, 0x0
	.amdhsa_kernel fft_rtc_back_len1456_factors_13_4_7_2_2_wgs_182_tpt_182_halfLds_dp_op_CI_CI_unitstride_sbrr_R2C_dirReg
		.amdhsa_group_segment_fixed_size 0
		.amdhsa_private_segment_fixed_size 12
		.amdhsa_kernarg_size 104
		.amdhsa_user_sgpr_count 6
		.amdhsa_user_sgpr_private_segment_buffer 1
		.amdhsa_user_sgpr_dispatch_ptr 0
		.amdhsa_user_sgpr_queue_ptr 0
		.amdhsa_user_sgpr_kernarg_segment_ptr 1
		.amdhsa_user_sgpr_dispatch_id 0
		.amdhsa_user_sgpr_flat_scratch_init 0
		.amdhsa_user_sgpr_private_segment_size 0
		.amdhsa_wavefront_size32 1
		.amdhsa_uses_dynamic_stack 0
		.amdhsa_system_sgpr_private_segment_wavefront_offset 1
		.amdhsa_system_sgpr_workgroup_id_x 1
		.amdhsa_system_sgpr_workgroup_id_y 0
		.amdhsa_system_sgpr_workgroup_id_z 0
		.amdhsa_system_sgpr_workgroup_info 0
		.amdhsa_system_vgpr_workitem_id 0
		.amdhsa_next_free_vgpr 256
		.amdhsa_next_free_sgpr 52
		.amdhsa_reserve_vcc 1
		.amdhsa_reserve_flat_scratch 0
		.amdhsa_float_round_mode_32 0
		.amdhsa_float_round_mode_16_64 0
		.amdhsa_float_denorm_mode_32 3
		.amdhsa_float_denorm_mode_16_64 3
		.amdhsa_dx10_clamp 1
		.amdhsa_ieee_mode 1
		.amdhsa_fp16_overflow 0
		.amdhsa_workgroup_processor_mode 1
		.amdhsa_memory_ordered 1
		.amdhsa_forward_progress 0
		.amdhsa_shared_vgpr_count 0
		.amdhsa_exception_fp_ieee_invalid_op 0
		.amdhsa_exception_fp_denorm_src 0
		.amdhsa_exception_fp_ieee_div_zero 0
		.amdhsa_exception_fp_ieee_overflow 0
		.amdhsa_exception_fp_ieee_underflow 0
		.amdhsa_exception_fp_ieee_inexact 0
		.amdhsa_exception_int_div_zero 0
	.end_amdhsa_kernel
	.text
.Lfunc_end0:
	.size	fft_rtc_back_len1456_factors_13_4_7_2_2_wgs_182_tpt_182_halfLds_dp_op_CI_CI_unitstride_sbrr_R2C_dirReg, .Lfunc_end0-fft_rtc_back_len1456_factors_13_4_7_2_2_wgs_182_tpt_182_halfLds_dp_op_CI_CI_unitstride_sbrr_R2C_dirReg
                                        ; -- End function
	.section	.AMDGPU.csdata,"",@progbits
; Kernel info:
; codeLenInByte = 11772
; NumSgprs: 54
; NumVgprs: 256
; ScratchSize: 12
; MemoryBound: 0
; FloatMode: 240
; IeeeMode: 1
; LDSByteSize: 0 bytes/workgroup (compile time only)
; SGPRBlocks: 6
; VGPRBlocks: 31
; NumSGPRsForWavesPerEU: 54
; NumVGPRsForWavesPerEU: 256
; Occupancy: 4
; WaveLimiterHint : 1
; COMPUTE_PGM_RSRC2:SCRATCH_EN: 1
; COMPUTE_PGM_RSRC2:USER_SGPR: 6
; COMPUTE_PGM_RSRC2:TRAP_HANDLER: 0
; COMPUTE_PGM_RSRC2:TGID_X_EN: 1
; COMPUTE_PGM_RSRC2:TGID_Y_EN: 0
; COMPUTE_PGM_RSRC2:TGID_Z_EN: 0
; COMPUTE_PGM_RSRC2:TIDIG_COMP_CNT: 0
	.text
	.p2alignl 6, 3214868480
	.fill 48, 4, 3214868480
	.type	__hip_cuid_a236f1e001f85c9b,@object ; @__hip_cuid_a236f1e001f85c9b
	.section	.bss,"aw",@nobits
	.globl	__hip_cuid_a236f1e001f85c9b
__hip_cuid_a236f1e001f85c9b:
	.byte	0                               ; 0x0
	.size	__hip_cuid_a236f1e001f85c9b, 1

	.ident	"AMD clang version 19.0.0git (https://github.com/RadeonOpenCompute/llvm-project roc-6.4.0 25133 c7fe45cf4b819c5991fe208aaa96edf142730f1d)"
	.section	".note.GNU-stack","",@progbits
	.addrsig
	.addrsig_sym __hip_cuid_a236f1e001f85c9b
	.amdgpu_metadata
---
amdhsa.kernels:
  - .args:
      - .actual_access:  read_only
        .address_space:  global
        .offset:         0
        .size:           8
        .value_kind:     global_buffer
      - .offset:         8
        .size:           8
        .value_kind:     by_value
      - .actual_access:  read_only
        .address_space:  global
        .offset:         16
        .size:           8
        .value_kind:     global_buffer
      - .actual_access:  read_only
        .address_space:  global
        .offset:         24
        .size:           8
        .value_kind:     global_buffer
      - .actual_access:  read_only
        .address_space:  global
        .offset:         32
        .size:           8
        .value_kind:     global_buffer
      - .offset:         40
        .size:           8
        .value_kind:     by_value
      - .actual_access:  read_only
        .address_space:  global
        .offset:         48
        .size:           8
        .value_kind:     global_buffer
      - .actual_access:  read_only
        .address_space:  global
        .offset:         56
        .size:           8
        .value_kind:     global_buffer
      - .offset:         64
        .size:           4
        .value_kind:     by_value
      - .actual_access:  read_only
        .address_space:  global
        .offset:         72
        .size:           8
        .value_kind:     global_buffer
      - .actual_access:  read_only
        .address_space:  global
        .offset:         80
        .size:           8
        .value_kind:     global_buffer
      - .actual_access:  read_only
        .address_space:  global
        .offset:         88
        .size:           8
        .value_kind:     global_buffer
      - .actual_access:  write_only
        .address_space:  global
        .offset:         96
        .size:           8
        .value_kind:     global_buffer
    .group_segment_fixed_size: 0
    .kernarg_segment_align: 8
    .kernarg_segment_size: 104
    .language:       OpenCL C
    .language_version:
      - 2
      - 0
    .max_flat_workgroup_size: 182
    .name:           fft_rtc_back_len1456_factors_13_4_7_2_2_wgs_182_tpt_182_halfLds_dp_op_CI_CI_unitstride_sbrr_R2C_dirReg
    .private_segment_fixed_size: 12
    .sgpr_count:     54
    .sgpr_spill_count: 0
    .symbol:         fft_rtc_back_len1456_factors_13_4_7_2_2_wgs_182_tpt_182_halfLds_dp_op_CI_CI_unitstride_sbrr_R2C_dirReg.kd
    .uniform_work_group_size: 1
    .uses_dynamic_stack: false
    .vgpr_count:     256
    .vgpr_spill_count: 2
    .wavefront_size: 32
    .workgroup_processor_mode: 1
amdhsa.target:   amdgcn-amd-amdhsa--gfx1030
amdhsa.version:
  - 1
  - 2
...

	.end_amdgpu_metadata
